;; amdgpu-corpus repo=llvm/llvm-project kind=harvested arch=n/a opt=n/a
// NOTE: Assertions have been autogenerated by utils/update_mc_test_checks.py UTC_ARGS: --unique --sort --version 6
// RUN: not llvm-mc -triple=amdgcn %s -filetype=null 2>&1 | FileCheck --implicit-check-not=error: %s
// RUN: not llvm-mc -triple=amdgcn -mcpu=tahiti %s -filetype=null 2>&1 | FileCheck --implicit-check-not=error: %s

//===----------------------------------------------------------------------===//
// swizzle
//===----------------------------------------------------------------------===//

// offset too big
ds_add_u32 v2, v4 offset:0x10000
// CHECK: :[[@LINE-1]]:19: error: expected a 16-bit unsigned offset

// offset too big
ds_add_u32 v2, v4 offset:1000000000
// CHECK: :[[@LINE-1]]:19: error: expected a 16-bit unsigned offset

ds_swizzle_b32 v8, v2 offset
// CHECK: :[[@LINE-1]]:29: error: expected a colon

ds_swizzle_b32 v8, v2 offset-
// CHECK: :[[@LINE-1]]:29: error: expected a colon

ds_swizzle_b32 v8, v2 offset:
// CHECK: :[[@LINE-1]]:30: error: unknown token in expression

ds_swizzle_b32 v8, v2 offset:SWIZZLE(QUAD_PERM, 0, 1, 2, 3)
// CHECK: :[[@LINE-1]]:30: error: expected a swizzle macro or an absolute expression

ds_swizzle_b32 v8, v2 offset:swizzle(BITMASK_PERM, "")
// CHECK: :[[@LINE-1]]:52: error: expected a 5-character mask

ds_swizzle_b32 v8, v2 offset:swizzle(BITMASK_PERM, "ppii")
// CHECK: :[[@LINE-1]]:52: error: expected a 5-character mask

ds_swizzle_b32 v8, v2 offset:swizzle(BITMASK_PERM, "pppi2")
// CHECK: :[[@LINE-1]]:52: error: invalid mask

ds_swizzle_b32 v8, v2 offset:swizzle(BITMASK_PERM, "pppiii")
// CHECK: :[[@LINE-1]]:52: error: expected a 5-character mask

ds_swizzle_b32 v8, v2 offset:swizzle(BITMASK_PERM, pppii)
// CHECK: :[[@LINE-1]]:52: error: expected a string

ds_swizzle_b32 v8, v2 offset:swizzle(BROADCAST,1,0)
// CHECK: :[[@LINE-1]]:48: error: group size must be in the interval [2,32]

ds_swizzle_b32 v8, v2 offset:swizzle(BROADCAST,2,-1)
// CHECK: :[[@LINE-1]]:50: error: lane id must be in the interval [0,group size - 1]

ds_swizzle_b32 v8, v2 offset:swizzle(BROADCAST,2,2)
// CHECK: :[[@LINE-1]]:50: error: lane id must be in the interval [0,group size - 1]

ds_swizzle_b32 v8, v2 offset:swizzle(BROADCAST,3,1)
// CHECK: :[[@LINE-1]]:48: error: group size must be a power of two

ds_swizzle_b32 v8, v2 offset:swizzle(BROADCAST,33,1)
// CHECK: :[[@LINE-1]]:48: error: group size must be in the interval [2,32]

ds_swizzle_b32 v8, v2 offset:swizzle(QUAD_PERM
// CHECK: :[[@LINE-1]]:47: error: expected a comma

ds_swizzle_b32 v8, v2 offset:swizzle(QUAD_PERM, -1, 1, 2, 3)
// CHECK: :[[@LINE-1]]:49: error: expected a 2-bit lane id

ds_swizzle_b32 v8, v2 offset:swizzle(QUAD_PERM, 0, 1, 2)
// CHECK: :[[@LINE-1]]:56: error: expected a comma

ds_swizzle_b32 v8, v2 offset:swizzle(QUAD_PERM, 0, 1, 2, 3
// CHECK: :[[@LINE-1]]:59: error: expected a closing parentheses

ds_swizzle_b32 v8, v2 offset:swizzle(QUAD_PERM, 0, 1, 2, 3, 4)
// CHECK: :[[@LINE-1]]:59: error: expected a closing parentheses

ds_swizzle_b32 v8, v2 offset:swizzle(QUAD_PERM, 4, 1, 2, 3)
// CHECK: :[[@LINE-1]]:49: error: expected a 2-bit lane id

ds_swizzle_b32 v8, v2 offset:swizzle(REVERSE,1)
// CHECK: :[[@LINE-1]]:46: error: group size must be in the interval [2,32]

ds_swizzle_b32 v8, v2 offset:swizzle(REVERSE,3)
// CHECK: :[[@LINE-1]]:46: error: group size must be a power of two

ds_swizzle_b32 v8, v2 offset:swizzle(REVERSE,33)
// CHECK: :[[@LINE-1]]:46: error: group size must be in the interval [2,32]

ds_swizzle_b32 v8, v2 offset:swizzle(SWAP,0)
// CHECK: :[[@LINE-1]]:43: error: group size must be in the interval [1,16]

ds_swizzle_b32 v8, v2 offset:swizzle(SWAP,17)
// CHECK: :[[@LINE-1]]:43: error: group size must be in the interval [1,16]

ds_swizzle_b32 v8, v2 offset:swizzle(SWAP,3)
// CHECK: :[[@LINE-1]]:43: error: group size must be a power of two

ds_swizzle_b32 v8, v2 offset:swizzle(SWAP,32)
// CHECK: :[[@LINE-1]]:43: error: group size must be in the interval [1,16]

ds_swizzle_b32 v8, v2 offset:swizzle(XXX,1)
// CHECK: :[[@LINE-1]]:38: error: expected a swizzle mode

ds_swizzle_b32 v8, v2 offset:swizzle(quad_perm, 0, 1, 2, 3)
// CHECK: :[[@LINE-1]]:38: error: expected a swizzle mode

// offset0 too big
ds_write2_b32 v2, v4, v6 offset0:0x100
// CHECK: :[[@LINE-1]]:26: error: invalid offset0 value.

// offset0 too big
ds_write2_b32 v2, v4, v6 offset0:1000000000
// CHECK: :[[@LINE-1]]:26: error: invalid offset0 value.

// offset0 twice
ds_write2_b32 v2, v4, v6 offset0:4 offset0:8
// CHECK: :[[@LINE-1]]:36: error: not a valid operand.

// offset1 too big
ds_write2_b32 v2, v4, v6 offset1:0x100
// CHECK: :[[@LINE-1]]:26: error: invalid offset1 value.

// offset1 too big
ds_write2_b32 v2, v4, v6 offset1:1000000000
// CHECK: :[[@LINE-1]]:26: error: invalid offset1 value.

// offset1 twice
ds_write2_b32 v2, v4, v6 offset1:4 offset1:8
// CHECK: :[[@LINE-1]]:36: error: invalid operand for instruction
